;; amdgpu-corpus repo=zjin-lcf/HeCBench kind=compiled arch=gfx906 opt=O3
	.amdgcn_target "amdgcn-amd-amdhsa--gfx906"
	.amdhsa_code_object_version 6
	.text
	.protected	_Z23cuComputeDistanceGlobalPKfiS0_iiPf ; -- Begin function _Z23cuComputeDistanceGlobalPKfiS0_iiPf
	.globl	_Z23cuComputeDistanceGlobalPKfiS0_iiPf
	.p2align	8
	.type	_Z23cuComputeDistanceGlobalPKfiS0_iiPf,@function
_Z23cuComputeDistanceGlobalPKfiS0_iiPf: ; @_Z23cuComputeDistanceGlobalPKfiS0_iiPf
; %bb.0:
	s_load_dwordx2 s[8:9], s[4:5], 0x18
	s_load_dword s16, s[4:5], 0x8
	s_lshl_b32 s20, s7, 4
	s_lshl_b32 s6, s6, 4
	v_add_u32_e32 v2, s6, v0
	s_waitcnt lgkmcnt(0)
	s_add_i32 s23, s9, -1
	s_mul_i32 s23, s23, s16
	v_add_u32_e32 v7, s20, v1
	v_cmp_gt_i32_e64 s[0:1], s8, v2
	s_cmp_gt_i32 s23, -1
	v_cmp_gt_i32_e64 s[2:3], s16, v7
	s_cbranch_scc0 .LBB0_13
; %bb.1:
	v_add_u32_e32 v3, s20, v0
	s_abs_i32 s24, s16
	v_cmp_gt_i32_e32 vcc, s16, v3
	v_cvt_f32_u32_e32 v3, s24
	v_lshlrev_b32_e32 v4, 6, v1
	v_lshlrev_b32_e32 v5, 2, v0
	v_add_u32_e32 v8, v4, v5
	v_rcp_iflag_f32_e32 v3, v3
	v_add_u32_e32 v9, 0x400, v5
	v_mul_lo_u32 v5, s8, v1
	s_sub_i32 s7, 0, s24
	v_mul_f32_e32 v3, 0x4f7ffffe, v3
	v_cvt_u32_f32_e32 v3, v3
	s_load_dwordx2 s[12:13], s[4:5], 0x0
	s_load_dwordx2 s[14:15], s[4:5], 0x10
	v_mul_i32_i24_e32 v11, 0xffffffc4, v1
	s_lshl_b32 s21, s16, 4
	v_readfirstlane_b32 s17, v3
	s_mul_i32 s7, s7, s17
	s_mul_hi_u32 s7, s17, s7
	s_add_i32 s26, s17, s7
	v_add3_u32 v3, v0, v5, s6
	v_mad_u64_u32 v[5:6], s[6:7], s16, v1, v[0:1]
	s_lshl_b32 s22, s8, 4
	s_add_i32 s23, s23, s20
	v_add_u32_e32 v10, v9, v4
	s_and_b64 s[10:11], s[2:3], s[0:1]
	s_ashr_i32 s25, s16, 31
	v_mov_b32_e32 v6, 0
	v_add_u32_e32 v11, v4, v11
	v_mov_b32_e32 v0, 0
	s_branch .LBB0_3
.LBB0_2:                                ;   in Loop: Header=BB0_3 Depth=1
	s_or_b64 exec, exec, s[6:7]
	s_add_i32 s20, s20, s21
	s_cmp_gt_i32 s20, s23
	v_add_u32_e32 v3, s22, v3
	s_barrier
	s_cbranch_scc1 .LBB0_14
.LBB0_3:                                ; =>This Inner Loop Header: Depth=1
	s_abs_i32 s7, s20
	s_mul_hi_u32 s16, s7, s26
	s_mul_i32 s17, s16, s24
	s_ashr_i32 s6, s20, 31
	s_sub_i32 s7, s7, s17
	s_xor_b32 s6, s6, s25
	s_add_i32 s17, s16, 1
	s_sub_i32 s18, s7, s24
	s_cmp_ge_u32 s7, s24
	s_cselect_b32 s16, s17, s16
	s_cselect_b32 s7, s18, s7
	s_add_i32 s17, s16, 1
	s_cmp_ge_u32 s7, s24
	s_cselect_b32 s7, s17, s16
	s_xor_b32 s7, s7, s6
	s_sub_i32 s6, s7, s6
	v_add_u32_e32 v4, s6, v1
	v_cmp_le_i32_e64 s[6:7], s9, v4
	s_and_saveexec_b64 s[16:17], s[6:7]
	s_xor_b64 s[6:7], exec, s[16:17]
; %bb.4:                                ;   in Loop: Header=BB0_3 Depth=1
	ds_write_b32 v8, v6
; %bb.5:                                ;   in Loop: Header=BB0_3 Depth=1
	s_or_saveexec_b64 s[16:17], s[6:7]
	v_mov_b32_e32 v4, 0
	s_xor_b64 exec, exec, s[16:17]
	s_cbranch_execz .LBB0_11
; %bb.6:                                ;   in Loop: Header=BB0_3 Depth=1
	v_mov_b32_e32 v4, 0
	v_mov_b32_e32 v12, 0
	s_and_saveexec_b64 s[18:19], vcc
	s_cbranch_execz .LBB0_8
; %bb.7:                                ;   in Loop: Header=BB0_3 Depth=1
	v_add_u32_e32 v12, s20, v5
	v_ashrrev_i32_e32 v13, 31, v12
	v_lshlrev_b64 v[12:13], 2, v[12:13]
	s_waitcnt lgkmcnt(0)
	v_mov_b32_e32 v14, s13
	v_add_co_u32_e64 v12, s[6:7], s12, v12
	v_addc_co_u32_e64 v13, s[6:7], v14, v13, s[6:7]
	global_load_dword v12, v[12:13], off
.LBB0_8:                                ;   in Loop: Header=BB0_3 Depth=1
	s_or_b64 exec, exec, s[18:19]
	s_waitcnt vmcnt(0)
	ds_write_b32 v8, v12
	s_and_saveexec_b64 s[18:19], s[0:1]
	s_cbranch_execz .LBB0_10
; %bb.9:                                ;   in Loop: Header=BB0_3 Depth=1
	v_ashrrev_i32_e32 v4, 31, v3
	v_lshlrev_b64 v[12:13], 2, v[3:4]
	s_waitcnt lgkmcnt(0)
	v_mov_b32_e32 v4, s15
	v_add_co_u32_e64 v12, s[6:7], s14, v12
	v_addc_co_u32_e64 v13, s[6:7], v4, v13, s[6:7]
	global_load_dword v4, v[12:13], off
.LBB0_10:                               ;   in Loop: Header=BB0_3 Depth=1
	s_or_b64 exec, exec, s[18:19]
.LBB0_11:                               ;   in Loop: Header=BB0_3 Depth=1
	s_or_b64 exec, exec, s[16:17]
	s_waitcnt vmcnt(0)
	ds_write_b32 v10, v4
	s_waitcnt lgkmcnt(0)
	s_barrier
	s_and_saveexec_b64 s[6:7], s[10:11]
	s_cbranch_execz .LBB0_2
; %bb.12:                               ;   in Loop: Header=BB0_3 Depth=1
	ds_read2_b32 v[12:13], v11 offset1:16
	ds_read2_b32 v[14:15], v9 offset1:16
	ds_read2_b32 v[16:17], v11 offset0:32 offset1:48
	ds_read2_b32 v[18:19], v9 offset0:32 offset1:48
	s_waitcnt lgkmcnt(2)
	v_sub_f32_e32 v4, v12, v14
	v_sub_f32_e32 v12, v13, v15
	v_fmac_f32_e32 v0, v4, v4
	v_fmac_f32_e32 v0, v12, v12
	ds_read2_b32 v[12:13], v11 offset0:64 offset1:80
	ds_read2_b32 v[14:15], v9 offset0:64 offset1:80
	s_waitcnt lgkmcnt(2)
	v_sub_f32_e32 v4, v16, v18
	v_fmac_f32_e32 v0, v4, v4
	v_sub_f32_e32 v4, v17, v19
	ds_read2_b32 v[16:17], v11 offset0:96 offset1:112
	ds_read2_b32 v[18:19], v9 offset0:96 offset1:112
	v_fmac_f32_e32 v0, v4, v4
	s_waitcnt lgkmcnt(2)
	v_sub_f32_e32 v4, v12, v14
	v_fmac_f32_e32 v0, v4, v4
	v_sub_f32_e32 v4, v13, v15
	ds_read2_b32 v[12:13], v11 offset0:128 offset1:144
	ds_read2_b32 v[14:15], v9 offset0:128 offset1:144
	v_fmac_f32_e32 v0, v4, v4
	;; [unrolled: 7-line block ×5, first 2 shown]
	s_waitcnt lgkmcnt(2)
	v_sub_f32_e32 v4, v12, v14
	v_fmac_f32_e32 v0, v4, v4
	v_sub_f32_e32 v4, v13, v15
	v_fmac_f32_e32 v0, v4, v4
	s_waitcnt lgkmcnt(0)
	v_sub_f32_e32 v4, v16, v18
	v_fmac_f32_e32 v0, v4, v4
	v_sub_f32_e32 v4, v17, v19
	v_fmac_f32_e32 v0, v4, v4
	s_branch .LBB0_2
.LBB0_13:
                                        ; implicit-def: $sgpr10_sgpr11
                                        ; implicit-def: $vgpr0
	s_cbranch_execnz .LBB0_15
	s_branch .LBB0_16
.LBB0_14:
	s_branch .LBB0_16
.LBB0_15:
	s_and_b64 s[0:1], s[2:3], s[0:1]
	s_andn2_b64 s[2:3], s[10:11], exec
	s_and_b64 s[0:1], s[0:1], exec
	v_mov_b32_e32 v0, 0
	s_or_b64 s[10:11], s[2:3], s[0:1]
.LBB0_16:
	s_and_saveexec_b64 s[0:1], s[10:11]
	s_cbranch_execz .LBB0_18
; %bb.17:
	v_mad_u64_u32 v[1:2], s[0:1], s8, v7, v[2:3]
	s_load_dwordx2 s[0:1], s[4:5], 0x20
	v_ashrrev_i32_e32 v2, 31, v1
	v_lshlrev_b64 v[1:2], 2, v[1:2]
	s_waitcnt lgkmcnt(0)
	v_mov_b32_e32 v3, s1
	v_add_co_u32_e32 v1, vcc, s0, v1
	v_addc_co_u32_e32 v2, vcc, v3, v2, vcc
	global_store_dword v[1:2], v0, off
.LBB0_18:
	s_endpgm
	.section	.rodata,"a",@progbits
	.p2align	6, 0x0
	.amdhsa_kernel _Z23cuComputeDistanceGlobalPKfiS0_iiPf
		.amdhsa_group_segment_fixed_size 2048
		.amdhsa_private_segment_fixed_size 0
		.amdhsa_kernarg_size 40
		.amdhsa_user_sgpr_count 6
		.amdhsa_user_sgpr_private_segment_buffer 1
		.amdhsa_user_sgpr_dispatch_ptr 0
		.amdhsa_user_sgpr_queue_ptr 0
		.amdhsa_user_sgpr_kernarg_segment_ptr 1
		.amdhsa_user_sgpr_dispatch_id 0
		.amdhsa_user_sgpr_flat_scratch_init 0
		.amdhsa_user_sgpr_private_segment_size 0
		.amdhsa_uses_dynamic_stack 0
		.amdhsa_system_sgpr_private_segment_wavefront_offset 0
		.amdhsa_system_sgpr_workgroup_id_x 1
		.amdhsa_system_sgpr_workgroup_id_y 1
		.amdhsa_system_sgpr_workgroup_id_z 0
		.amdhsa_system_sgpr_workgroup_info 0
		.amdhsa_system_vgpr_workitem_id 1
		.amdhsa_next_free_vgpr 29
		.amdhsa_next_free_sgpr 61
		.amdhsa_reserve_vcc 1
		.amdhsa_reserve_flat_scratch 0
		.amdhsa_float_round_mode_32 0
		.amdhsa_float_round_mode_16_64 0
		.amdhsa_float_denorm_mode_32 3
		.amdhsa_float_denorm_mode_16_64 3
		.amdhsa_dx10_clamp 1
		.amdhsa_ieee_mode 1
		.amdhsa_fp16_overflow 0
		.amdhsa_exception_fp_ieee_invalid_op 0
		.amdhsa_exception_fp_denorm_src 0
		.amdhsa_exception_fp_ieee_div_zero 0
		.amdhsa_exception_fp_ieee_overflow 0
		.amdhsa_exception_fp_ieee_underflow 0
		.amdhsa_exception_fp_ieee_inexact 0
		.amdhsa_exception_int_div_zero 0
	.end_amdhsa_kernel
	.text
.Lfunc_end0:
	.size	_Z23cuComputeDistanceGlobalPKfiS0_iiPf, .Lfunc_end0-_Z23cuComputeDistanceGlobalPKfiS0_iiPf
                                        ; -- End function
	.set _Z23cuComputeDistanceGlobalPKfiS0_iiPf.num_vgpr, 20
	.set _Z23cuComputeDistanceGlobalPKfiS0_iiPf.num_agpr, 0
	.set _Z23cuComputeDistanceGlobalPKfiS0_iiPf.numbered_sgpr, 27
	.set _Z23cuComputeDistanceGlobalPKfiS0_iiPf.num_named_barrier, 0
	.set _Z23cuComputeDistanceGlobalPKfiS0_iiPf.private_seg_size, 0
	.set _Z23cuComputeDistanceGlobalPKfiS0_iiPf.uses_vcc, 1
	.set _Z23cuComputeDistanceGlobalPKfiS0_iiPf.uses_flat_scratch, 0
	.set _Z23cuComputeDistanceGlobalPKfiS0_iiPf.has_dyn_sized_stack, 0
	.set _Z23cuComputeDistanceGlobalPKfiS0_iiPf.has_recursion, 0
	.set _Z23cuComputeDistanceGlobalPKfiS0_iiPf.has_indirect_call, 0
	.section	.AMDGPU.csdata,"",@progbits
; Kernel info:
; codeLenInByte = 916
; TotalNumSgprs: 31
; NumVgprs: 20
; ScratchSize: 0
; MemoryBound: 0
; FloatMode: 240
; IeeeMode: 1
; LDSByteSize: 2048 bytes/workgroup (compile time only)
; SGPRBlocks: 8
; VGPRBlocks: 7
; NumSGPRsForWavesPerEU: 65
; NumVGPRsForWavesPerEU: 29
; Occupancy: 8
; WaveLimiterHint : 0
; COMPUTE_PGM_RSRC2:SCRATCH_EN: 0
; COMPUTE_PGM_RSRC2:USER_SGPR: 6
; COMPUTE_PGM_RSRC2:TRAP_HANDLER: 0
; COMPUTE_PGM_RSRC2:TGID_X_EN: 1
; COMPUTE_PGM_RSRC2:TGID_Y_EN: 1
; COMPUTE_PGM_RSRC2:TGID_Z_EN: 0
; COMPUTE_PGM_RSRC2:TIDIG_COMP_CNT: 1
	.text
	.protected	_Z15cuInsertionSortPfPiiii ; -- Begin function _Z15cuInsertionSortPfPiiii
	.globl	_Z15cuInsertionSortPfPiiii
	.p2align	8
	.type	_Z15cuInsertionSortPfPiiii,@function
_Z15cuInsertionSortPfPiiii:             ; @_Z15cuInsertionSortPfPiiii
; %bb.0:
	s_load_dword s0, s[4:5], 0x2c
	s_load_dwordx4 s[8:11], s[4:5], 0x10
	s_waitcnt lgkmcnt(0)
	s_and_b32 s0, s0, 0xffff
	s_mul_i32 s6, s6, s0
	v_add_u32_e32 v3, s6, v0
	v_cmp_gt_u32_e32 vcc, s8, v3
	s_and_saveexec_b64 s[0:1], vcc
	s_cbranch_execz .LBB1_33
; %bb.1:
	s_load_dwordx4 s[0:3], s[4:5], 0x0
	v_mov_b32_e32 v4, 0
	v_lshlrev_b64 v[2:3], 2, v[3:4]
	s_cmp_gt_i32 s10, 1
	s_mov_b32 s16, 1
	s_waitcnt lgkmcnt(0)
	v_mov_b32_e32 v1, s1
	v_add_co_u32_e32 v0, vcc, s0, v2
	v_addc_co_u32_e32 v1, vcc, v1, v3, vcc
	global_load_dword v6, v[0:1], off
	v_mov_b32_e32 v5, s3
	v_add_co_u32_e32 v2, vcc, s2, v2
	s_cselect_b64 s[0:1], -1, 0
	s_add_i32 s11, s10, -1
	v_addc_co_u32_e32 v3, vcc, v5, v3, vcc
	s_cmp_lt_i32 s10, 2
	global_store_dword v[2:3], v4, off
	s_cbranch_scc1 .LBB1_18
; %bb.2:
	s_ashr_i32 s3, s8, 31
	s_mov_b32 s2, s8
	s_lshl_b64 s[2:3], s[2:3], 2
	s_mov_b32 s17, 0
	s_mov_b32 s18, 0
.LBB1_3:                                ; =>This Loop Header: Depth=1
                                        ;     Child Loop BB1_9 Depth 2
                                        ;     Child Loop BB1_14 Depth 2
	s_mul_i32 s4, s16, s8
	s_ashr_i32 s5, s4, 31
	s_lshl_b64 s[4:5], s[4:5], 2
	v_mov_b32_e32 v5, s5
	v_add_co_u32_e32 v4, vcc, s4, v0
	v_addc_co_u32_e32 v5, vcc, v1, v5, vcc
	global_load_dword v8, v[4:5], off
	s_waitcnt vmcnt(0)
	v_cmp_nlt_f32_e32 vcc, v8, v6
	s_and_saveexec_b64 s[6:7], vcc
	s_xor_b64 s[6:7], exec, s[6:7]
	s_cbranch_execz .LBB1_5
; %bb.4:                                ;   in Loop: Header=BB1_3 Depth=1
	v_mov_b32_e32 v5, s5
	v_add_co_u32_e32 v4, vcc, s4, v2
	v_addc_co_u32_e32 v5, vcc, v3, v5, vcc
	v_mov_b32_e32 v6, s16
	global_store_dword v[4:5], v6, off
                                        ; implicit-def: $vgpr4_vgpr5
.LBB1_5:                                ;   in Loop: Header=BB1_3 Depth=1
	s_andn2_saveexec_b64 s[4:5], s[6:7]
	s_cbranch_execz .LBB1_16
; %bb.6:                                ;   in Loop: Header=BB1_3 Depth=1
	s_add_i32 s19, s16, -1
	s_cmp_lt_u32 s16, 2
	v_mov_b32_e32 v9, s19
	s_cbranch_scc1 .LBB1_12
; %bb.7:                                ;   in Loop: Header=BB1_3 Depth=1
	v_mov_b32_e32 v7, v1
	s_mov_b32 s20, 0
	s_mov_b64 s[6:7], 0
	v_mov_b32_e32 v6, v0
                                        ; implicit-def: $sgpr12_sgpr13
	s_branch .LBB1_9
.LBB1_8:                                ;   in Loop: Header=BB1_9 Depth=2
	s_or_b64 exec, exec, s[14:15]
	s_and_b64 s[14:15], exec, s[12:13]
	s_or_b64 s[6:7], s[14:15], s[6:7]
	s_andn2_b64 exec, exec, s[6:7]
	s_cbranch_execz .LBB1_11
.LBB1_9:                                ;   Parent Loop BB1_3 Depth=1
                                        ; =>  This Inner Loop Header: Depth=2
	global_load_dword v10, v[6:7], off
	v_mov_b32_e32 v9, s20
	s_or_b64 s[12:13], s[12:13], exec
	s_waitcnt vmcnt(0)
	v_cmp_ngt_f32_e32 vcc, v10, v8
	s_and_saveexec_b64 s[14:15], vcc
	s_cbranch_execz .LBB1_8
; %bb.10:                               ;   in Loop: Header=BB1_9 Depth=2
	s_add_i32 s20, s20, 1
	s_cmp_eq_u32 s18, s20
	s_cselect_b64 s[22:23], -1, 0
	v_mov_b32_e32 v9, s3
	v_add_co_u32_e32 v6, vcc, s2, v6
	s_andn2_b64 s[12:13], s[12:13], exec
	s_and_b64 s[22:23], s[22:23], exec
	v_addc_co_u32_e32 v7, vcc, v7, v9, vcc
	v_mov_b32_e32 v9, s19
	s_or_b64 s[12:13], s[12:13], s[22:23]
	s_branch .LBB1_8
.LBB1_11:                               ;   in Loop: Header=BB1_3 Depth=1
	s_or_b64 exec, exec, s[6:7]
.LBB1_12:                               ;   in Loop: Header=BB1_3 Depth=1
	v_cmp_gt_u32_e32 vcc, s16, v9
	s_and_saveexec_b64 s[6:7], vcc
	s_cbranch_execz .LBB1_15
; %bb.13:                               ;   in Loop: Header=BB1_3 Depth=1
	s_mov_b64 s[12:13], 0
	s_mov_b32 s14, s17
	s_mov_b32 s19, s16
.LBB1_14:                               ;   Parent Loop BB1_3 Depth=1
                                        ; =>  This Inner Loop Header: Depth=2
	s_ashr_i32 s15, s14, 31
	s_lshl_b64 s[20:21], s[14:15], 2
	v_mov_b32_e32 v10, s21
	v_add_co_u32_e32 v6, vcc, s20, v0
	v_addc_co_u32_e32 v7, vcc, v1, v10, vcc
	global_load_dword v12, v[6:7], off
	v_add_co_u32_e32 v6, vcc, s20, v2
	v_addc_co_u32_e32 v7, vcc, v3, v10, vcc
	global_load_dword v13, v[6:7], off
	s_add_i32 s20, s8, s14
	s_add_i32 s19, s19, -1
	s_ashr_i32 s21, s20, 31
	s_sub_i32 s14, s14, s8
	v_cmp_le_i32_e32 vcc, s19, v9
	s_lshl_b64 s[20:21], s[20:21], 2
	v_mov_b32_e32 v11, s21
	s_or_b64 s[12:13], vcc, s[12:13]
	v_add_co_u32_e32 v6, vcc, s20, v0
	v_addc_co_u32_e32 v7, vcc, v1, v11, vcc
	v_add_co_u32_e32 v10, vcc, s20, v2
	v_addc_co_u32_e32 v11, vcc, v3, v11, vcc
	s_waitcnt vmcnt(1)
	global_store_dword v[6:7], v12, off
	s_waitcnt vmcnt(1)
	global_store_dword v[10:11], v13, off
	s_andn2_b64 exec, exec, s[12:13]
	s_cbranch_execnz .LBB1_14
.LBB1_15:                               ;   in Loop: Header=BB1_3 Depth=1
	s_or_b64 exec, exec, s[6:7]
	v_mul_lo_u32 v6, v9, s8
	v_ashrrev_i32_e32 v7, 31, v6
	v_lshlrev_b64 v[6:7], 2, v[6:7]
	v_add_co_u32_e32 v9, vcc, v0, v6
	v_addc_co_u32_e32 v10, vcc, v1, v7, vcc
	global_store_dword v[9:10], v8, off
	global_load_dword v8, v[4:5], off
	v_add_co_u32_e32 v4, vcc, v2, v6
	v_addc_co_u32_e32 v5, vcc, v3, v7, vcc
	v_mov_b32_e32 v6, s16
	global_store_dword v[4:5], v6, off
.LBB1_16:                               ;   in Loop: Header=BB1_3 Depth=1
	s_or_b64 exec, exec, s[4:5]
	s_add_i32 s16, s16, 1
	s_add_i32 s18, s18, 1
	;; [unrolled: 1-line block ×3, first 2 shown]
	s_cmp_lg_u32 s18, s11
	s_cbranch_scc0 .LBB1_19
; %bb.17:                               ;   in Loop: Header=BB1_3 Depth=1
	s_waitcnt vmcnt(1)
	v_mov_b32_e32 v6, v8
	s_branch .LBB1_3
.LBB1_18:
	s_waitcnt vmcnt(1)
	v_mov_b32_e32 v8, v6
.LBB1_19:
	s_cmp_ge_i32 s10, s9
	s_cbranch_scc1 .LBB1_33
; %bb.20:
	s_mul_i32 s4, s11, s8
	s_ashr_i32 s5, s4, 31
	s_lshl_b64 s[2:3], s[4:5], 2
	v_mov_b32_e32 v5, s3
	v_add_co_u32_e32 v4, vcc, s2, v0
	s_ashr_i32 s3, s8, 31
	s_mov_b32 s2, s8
	s_lshl_b64 s[6:7], s[2:3], 2
	s_add_i32 s2, s10, -2
	v_cndmask_b32_e64 v6, 0, 1, s[0:1]
	v_addc_co_u32_e32 v5, vcc, v1, v5, vcc
	s_mul_i32 s5, s8, s2
	v_cmp_ne_u32_e64 s[0:1], 1, v6
	s_branch .LBB1_23
.LBB1_21:                               ;   in Loop: Header=BB1_23 Depth=1
	s_or_b64 exec, exec, s[14:15]
	v_mul_lo_u32 v6, v8, s8
	v_ashrrev_i32_e32 v7, 31, v6
	v_lshlrev_b64 v[6:7], 2, v[6:7]
	v_add_co_u32_e32 v10, vcc, v0, v6
	v_addc_co_u32_e32 v11, vcc, v1, v7, vcc
	global_store_dword v[10:11], v9, off
	global_load_dword v8, v[4:5], off
	v_add_co_u32_e32 v6, vcc, v2, v6
	v_addc_co_u32_e32 v7, vcc, v3, v7, vcc
	v_mov_b32_e32 v9, s10
	global_store_dword v[6:7], v9, off
.LBB1_22:                               ;   in Loop: Header=BB1_23 Depth=1
	s_or_b64 exec, exec, s[12:13]
	s_add_i32 s10, s10, 1
	s_cmp_lt_i32 s10, s9
	s_cbranch_scc0 .LBB1_33
.LBB1_23:                               ; =>This Loop Header: Depth=1
                                        ;     Child Loop BB1_27 Depth 2
                                        ;     Child Loop BB1_32 Depth 2
	s_mul_i32 s2, s10, s8
	s_ashr_i32 s3, s2, 31
	s_lshl_b64 s[2:3], s[2:3], 2
	v_mov_b32_e32 v7, s3
	v_add_co_u32_e32 v6, vcc, s2, v0
	v_addc_co_u32_e32 v7, vcc, v1, v7, vcc
	global_load_dword v9, v[6:7], off
	s_waitcnt vmcnt(0)
	v_cmp_lt_f32_e32 vcc, v9, v8
	s_and_saveexec_b64 s[12:13], vcc
	s_cbranch_execz .LBB1_22
; %bb.24:                               ;   in Loop: Header=BB1_23 Depth=1
	s_and_b64 vcc, exec, s[0:1]
	v_mov_b32_e32 v8, s11
	s_cbranch_vccnz .LBB1_30
; %bb.25:                               ;   in Loop: Header=BB1_23 Depth=1
	v_mov_b32_e32 v7, v1
	s_mov_b32 s18, 0
	s_mov_b64 s[2:3], 0
	v_mov_b32_e32 v6, v0
                                        ; implicit-def: $sgpr14_sgpr15
	s_branch .LBB1_27
.LBB1_26:                               ;   in Loop: Header=BB1_27 Depth=2
	s_or_b64 exec, exec, s[16:17]
	s_and_b64 s[16:17], exec, s[14:15]
	s_or_b64 s[2:3], s[16:17], s[2:3]
	s_andn2_b64 exec, exec, s[2:3]
	s_cbranch_execz .LBB1_29
.LBB1_27:                               ;   Parent Loop BB1_23 Depth=1
                                        ; =>  This Inner Loop Header: Depth=2
	global_load_dword v10, v[6:7], off
	v_mov_b32_e32 v8, s18
	s_or_b64 s[14:15], s[14:15], exec
	s_waitcnt vmcnt(0)
	v_cmp_ngt_f32_e32 vcc, v10, v9
	s_and_saveexec_b64 s[16:17], vcc
	s_cbranch_execz .LBB1_26
; %bb.28:                               ;   in Loop: Header=BB1_27 Depth=2
	s_add_i32 s18, s18, 1
	s_cmp_eq_u32 s11, s18
	s_cselect_b64 s[20:21], -1, 0
	v_mov_b32_e32 v8, s7
	v_add_co_u32_e32 v6, vcc, s6, v6
	s_andn2_b64 s[14:15], s[14:15], exec
	s_and_b64 s[20:21], s[20:21], exec
	v_addc_co_u32_e32 v7, vcc, v7, v8, vcc
	v_mov_b32_e32 v8, s11
	s_or_b64 s[14:15], s[14:15], s[20:21]
	s_branch .LBB1_26
.LBB1_29:                               ;   in Loop: Header=BB1_23 Depth=1
	s_or_b64 exec, exec, s[2:3]
.LBB1_30:                               ;   in Loop: Header=BB1_23 Depth=1
	v_cmp_gt_i32_e32 vcc, s11, v8
	s_and_saveexec_b64 s[14:15], vcc
	s_cbranch_execz .LBB1_21
; %bb.31:                               ;   in Loop: Header=BB1_23 Depth=1
	s_mov_b32 s18, 0
	s_mov_b64 s[16:17], 0
	s_mov_b32 s19, s11
.LBB1_32:                               ;   Parent Loop BB1_23 Depth=1
                                        ; =>  This Inner Loop Header: Depth=2
	s_add_i32 s2, s5, s18
	s_ashr_i32 s3, s2, 31
	s_lshl_b64 s[2:3], s[2:3], 2
	v_mov_b32_e32 v7, s3
	v_add_co_u32_e32 v6, vcc, s2, v2
	v_add_co_u32_e64 v10, s[2:3], s2, v0
	v_addc_co_u32_e64 v11, s[2:3], v1, v7, s[2:3]
	v_addc_co_u32_e32 v7, vcc, v3, v7, vcc
	global_load_dword v12, v[10:11], off
	global_load_dword v13, v[6:7], off
	s_add_i32 s2, s4, s18
	s_add_i32 s19, s19, -1
	s_ashr_i32 s3, s2, 31
	s_sub_i32 s18, s18, s8
	v_cmp_le_i32_e32 vcc, s19, v8
	s_lshl_b64 s[20:21], s[2:3], 2
	v_mov_b32_e32 v7, s21
	s_or_b64 s[16:17], vcc, s[16:17]
	v_add_co_u32_e32 v10, vcc, s20, v0
	v_add_co_u32_e64 v6, s[2:3], s20, v2
	v_addc_co_u32_e32 v11, vcc, v1, v7, vcc
	v_addc_co_u32_e64 v7, vcc, v3, v7, s[2:3]
	s_waitcnt vmcnt(1)
	global_store_dword v[10:11], v12, off
	s_waitcnt vmcnt(1)
	global_store_dword v[6:7], v13, off
	s_andn2_b64 exec, exec, s[16:17]
	s_cbranch_execnz .LBB1_32
	s_branch .LBB1_21
.LBB1_33:
	s_endpgm
	.section	.rodata,"a",@progbits
	.p2align	6, 0x0
	.amdhsa_kernel _Z15cuInsertionSortPfPiiii
		.amdhsa_group_segment_fixed_size 0
		.amdhsa_private_segment_fixed_size 0
		.amdhsa_kernarg_size 288
		.amdhsa_user_sgpr_count 6
		.amdhsa_user_sgpr_private_segment_buffer 1
		.amdhsa_user_sgpr_dispatch_ptr 0
		.amdhsa_user_sgpr_queue_ptr 0
		.amdhsa_user_sgpr_kernarg_segment_ptr 1
		.amdhsa_user_sgpr_dispatch_id 0
		.amdhsa_user_sgpr_flat_scratch_init 0
		.amdhsa_user_sgpr_private_segment_size 0
		.amdhsa_uses_dynamic_stack 0
		.amdhsa_system_sgpr_private_segment_wavefront_offset 0
		.amdhsa_system_sgpr_workgroup_id_x 1
		.amdhsa_system_sgpr_workgroup_id_y 0
		.amdhsa_system_sgpr_workgroup_id_z 0
		.amdhsa_system_sgpr_workgroup_info 0
		.amdhsa_system_vgpr_workitem_id 0
		.amdhsa_next_free_vgpr 14
		.amdhsa_next_free_sgpr 24
		.amdhsa_reserve_vcc 1
		.amdhsa_reserve_flat_scratch 0
		.amdhsa_float_round_mode_32 0
		.amdhsa_float_round_mode_16_64 0
		.amdhsa_float_denorm_mode_32 3
		.amdhsa_float_denorm_mode_16_64 3
		.amdhsa_dx10_clamp 1
		.amdhsa_ieee_mode 1
		.amdhsa_fp16_overflow 0
		.amdhsa_exception_fp_ieee_invalid_op 0
		.amdhsa_exception_fp_denorm_src 0
		.amdhsa_exception_fp_ieee_div_zero 0
		.amdhsa_exception_fp_ieee_overflow 0
		.amdhsa_exception_fp_ieee_underflow 0
		.amdhsa_exception_fp_ieee_inexact 0
		.amdhsa_exception_int_div_zero 0
	.end_amdhsa_kernel
	.text
.Lfunc_end1:
	.size	_Z15cuInsertionSortPfPiiii, .Lfunc_end1-_Z15cuInsertionSortPfPiiii
                                        ; -- End function
	.set _Z15cuInsertionSortPfPiiii.num_vgpr, 14
	.set _Z15cuInsertionSortPfPiiii.num_agpr, 0
	.set _Z15cuInsertionSortPfPiiii.numbered_sgpr, 24
	.set _Z15cuInsertionSortPfPiiii.num_named_barrier, 0
	.set _Z15cuInsertionSortPfPiiii.private_seg_size, 0
	.set _Z15cuInsertionSortPfPiiii.uses_vcc, 1
	.set _Z15cuInsertionSortPfPiiii.uses_flat_scratch, 0
	.set _Z15cuInsertionSortPfPiiii.has_dyn_sized_stack, 0
	.set _Z15cuInsertionSortPfPiiii.has_recursion, 0
	.set _Z15cuInsertionSortPfPiiii.has_indirect_call, 0
	.section	.AMDGPU.csdata,"",@progbits
; Kernel info:
; codeLenInByte = 1148
; TotalNumSgprs: 28
; NumVgprs: 14
; ScratchSize: 0
; MemoryBound: 0
; FloatMode: 240
; IeeeMode: 1
; LDSByteSize: 0 bytes/workgroup (compile time only)
; SGPRBlocks: 3
; VGPRBlocks: 3
; NumSGPRsForWavesPerEU: 28
; NumVGPRsForWavesPerEU: 14
; Occupancy: 10
; WaveLimiterHint : 0
; COMPUTE_PGM_RSRC2:SCRATCH_EN: 0
; COMPUTE_PGM_RSRC2:USER_SGPR: 6
; COMPUTE_PGM_RSRC2:TRAP_HANDLER: 0
; COMPUTE_PGM_RSRC2:TGID_X_EN: 1
; COMPUTE_PGM_RSRC2:TGID_Y_EN: 0
; COMPUTE_PGM_RSRC2:TGID_Z_EN: 0
; COMPUTE_PGM_RSRC2:TIDIG_COMP_CNT: 0
	.text
	.protected	_Z14cuParallelSqrtPfii  ; -- Begin function _Z14cuParallelSqrtPfii
	.globl	_Z14cuParallelSqrtPfii
	.p2align	8
	.type	_Z14cuParallelSqrtPfii,@function
_Z14cuParallelSqrtPfii:                 ; @_Z14cuParallelSqrtPfii
; %bb.0:
	s_load_dword s0, s[4:5], 0x1c
	s_load_dwordx2 s[2:3], s[4:5], 0x8
	s_waitcnt lgkmcnt(0)
	s_lshr_b32 s1, s0, 16
	s_and_b32 s0, s0, 0xffff
	s_mul_i32 s6, s6, s0
	s_mul_i32 s7, s7, s1
	v_add_u32_e32 v0, s6, v0
	v_add_u32_e32 v1, s7, v1
	v_cmp_gt_u32_e32 vcc, s2, v0
	v_cmp_gt_u32_e64 s[0:1], s3, v1
	s_and_b64 s[0:1], vcc, s[0:1]
	s_and_saveexec_b64 s[6:7], s[0:1]
	s_cbranch_execz .LBB2_2
; %bb.1:
	v_mad_u64_u32 v[0:1], s[2:3], v1, s2, v[0:1]
	s_load_dwordx2 s[0:1], s[4:5], 0x0
	v_mov_b32_e32 v1, 0
	v_lshlrev_b64 v[0:1], 2, v[0:1]
	v_mov_b32_e32 v4, 0x260
	s_waitcnt lgkmcnt(0)
	v_mov_b32_e32 v2, s1
	v_add_co_u32_e32 v0, vcc, s0, v0
	v_addc_co_u32_e32 v1, vcc, v2, v1, vcc
	global_load_dword v2, v[0:1], off
	s_mov_b32 s0, 0xf800000
	s_waitcnt vmcnt(0)
	v_mul_f32_e32 v3, 0x4f800000, v2
	v_cmp_gt_f32_e32 vcc, s0, v2
	v_cndmask_b32_e32 v2, v2, v3, vcc
	v_sqrt_f32_e32 v3, v2
	v_add_u32_e32 v5, -1, v3
	v_add_u32_e32 v6, 1, v3
	v_fma_f32 v7, -v5, v3, v2
	v_fma_f32 v8, -v6, v3, v2
	v_cmp_ge_f32_e64 s[0:1], 0, v7
	v_cndmask_b32_e64 v3, v3, v5, s[0:1]
	v_cmp_lt_f32_e64 s[0:1], 0, v8
	v_cndmask_b32_e64 v3, v3, v6, s[0:1]
	v_mul_f32_e32 v5, 0x37800000, v3
	v_cndmask_b32_e32 v3, v3, v5, vcc
	v_cmp_class_f32_e32 vcc, v2, v4
	v_cndmask_b32_e32 v2, v3, v2, vcc
	global_store_dword v[0:1], v2, off
.LBB2_2:
	s_endpgm
	.section	.rodata,"a",@progbits
	.p2align	6, 0x0
	.amdhsa_kernel _Z14cuParallelSqrtPfii
		.amdhsa_group_segment_fixed_size 0
		.amdhsa_private_segment_fixed_size 0
		.amdhsa_kernarg_size 272
		.amdhsa_user_sgpr_count 6
		.amdhsa_user_sgpr_private_segment_buffer 1
		.amdhsa_user_sgpr_dispatch_ptr 0
		.amdhsa_user_sgpr_queue_ptr 0
		.amdhsa_user_sgpr_kernarg_segment_ptr 1
		.amdhsa_user_sgpr_dispatch_id 0
		.amdhsa_user_sgpr_flat_scratch_init 0
		.amdhsa_user_sgpr_private_segment_size 0
		.amdhsa_uses_dynamic_stack 0
		.amdhsa_system_sgpr_private_segment_wavefront_offset 0
		.amdhsa_system_sgpr_workgroup_id_x 1
		.amdhsa_system_sgpr_workgroup_id_y 1
		.amdhsa_system_sgpr_workgroup_id_z 0
		.amdhsa_system_sgpr_workgroup_info 0
		.amdhsa_system_vgpr_workitem_id 1
		.amdhsa_next_free_vgpr 9
		.amdhsa_next_free_sgpr 8
		.amdhsa_reserve_vcc 1
		.amdhsa_reserve_flat_scratch 0
		.amdhsa_float_round_mode_32 0
		.amdhsa_float_round_mode_16_64 0
		.amdhsa_float_denorm_mode_32 3
		.amdhsa_float_denorm_mode_16_64 3
		.amdhsa_dx10_clamp 1
		.amdhsa_ieee_mode 1
		.amdhsa_fp16_overflow 0
		.amdhsa_exception_fp_ieee_invalid_op 0
		.amdhsa_exception_fp_denorm_src 0
		.amdhsa_exception_fp_ieee_div_zero 0
		.amdhsa_exception_fp_ieee_overflow 0
		.amdhsa_exception_fp_ieee_underflow 0
		.amdhsa_exception_fp_ieee_inexact 0
		.amdhsa_exception_int_div_zero 0
	.end_amdhsa_kernel
	.text
.Lfunc_end2:
	.size	_Z14cuParallelSqrtPfii, .Lfunc_end2-_Z14cuParallelSqrtPfii
                                        ; -- End function
	.set _Z14cuParallelSqrtPfii.num_vgpr, 9
	.set _Z14cuParallelSqrtPfii.num_agpr, 0
	.set _Z14cuParallelSqrtPfii.numbered_sgpr, 8
	.set _Z14cuParallelSqrtPfii.num_named_barrier, 0
	.set _Z14cuParallelSqrtPfii.private_seg_size, 0
	.set _Z14cuParallelSqrtPfii.uses_vcc, 1
	.set _Z14cuParallelSqrtPfii.uses_flat_scratch, 0
	.set _Z14cuParallelSqrtPfii.has_dyn_sized_stack, 0
	.set _Z14cuParallelSqrtPfii.has_recursion, 0
	.set _Z14cuParallelSqrtPfii.has_indirect_call, 0
	.section	.AMDGPU.csdata,"",@progbits
; Kernel info:
; codeLenInByte = 252
; TotalNumSgprs: 12
; NumVgprs: 9
; ScratchSize: 0
; MemoryBound: 0
; FloatMode: 240
; IeeeMode: 1
; LDSByteSize: 0 bytes/workgroup (compile time only)
; SGPRBlocks: 1
; VGPRBlocks: 2
; NumSGPRsForWavesPerEU: 12
; NumVGPRsForWavesPerEU: 9
; Occupancy: 10
; WaveLimiterHint : 0
; COMPUTE_PGM_RSRC2:SCRATCH_EN: 0
; COMPUTE_PGM_RSRC2:USER_SGPR: 6
; COMPUTE_PGM_RSRC2:TRAP_HANDLER: 0
; COMPUTE_PGM_RSRC2:TGID_X_EN: 1
; COMPUTE_PGM_RSRC2:TGID_Y_EN: 1
; COMPUTE_PGM_RSRC2:TGID_Z_EN: 0
; COMPUTE_PGM_RSRC2:TIDIG_COMP_CNT: 1
	.section	.AMDGPU.gpr_maximums,"",@progbits
	.set amdgpu.max_num_vgpr, 0
	.set amdgpu.max_num_agpr, 0
	.set amdgpu.max_num_sgpr, 0
	.section	.AMDGPU.csdata,"",@progbits
	.type	__hip_cuid_f3ec718c3a2d3a0,@object ; @__hip_cuid_f3ec718c3a2d3a0
	.section	.bss,"aw",@nobits
	.globl	__hip_cuid_f3ec718c3a2d3a0
__hip_cuid_f3ec718c3a2d3a0:
	.byte	0                               ; 0x0
	.size	__hip_cuid_f3ec718c3a2d3a0, 1

	.ident	"AMD clang version 22.0.0git (https://github.com/RadeonOpenCompute/llvm-project roc-7.2.4 26084 f58b06dce1f9c15707c5f808fd002e18c2accf7e)"
	.section	".note.GNU-stack","",@progbits
	.addrsig
	.addrsig_sym __hip_cuid_f3ec718c3a2d3a0
	.amdgpu_metadata
---
amdhsa.kernels:
  - .args:
      - .actual_access:  read_only
        .address_space:  global
        .offset:         0
        .size:           8
        .value_kind:     global_buffer
      - .offset:         8
        .size:           4
        .value_kind:     by_value
      - .actual_access:  read_only
        .address_space:  global
        .offset:         16
        .size:           8
        .value_kind:     global_buffer
      - .offset:         24
        .size:           4
        .value_kind:     by_value
      - .offset:         28
        .size:           4
        .value_kind:     by_value
      - .actual_access:  write_only
        .address_space:  global
        .offset:         32
        .size:           8
        .value_kind:     global_buffer
    .group_segment_fixed_size: 2048
    .kernarg_segment_align: 8
    .kernarg_segment_size: 40
    .language:       OpenCL C
    .language_version:
      - 2
      - 0
    .max_flat_workgroup_size: 1024
    .name:           _Z23cuComputeDistanceGlobalPKfiS0_iiPf
    .private_segment_fixed_size: 0
    .sgpr_count:     31
    .sgpr_spill_count: 0
    .symbol:         _Z23cuComputeDistanceGlobalPKfiS0_iiPf.kd
    .uniform_work_group_size: 1
    .uses_dynamic_stack: false
    .vgpr_count:     20
    .vgpr_spill_count: 0
    .wavefront_size: 64
  - .args:
      - .address_space:  global
        .offset:         0
        .size:           8
        .value_kind:     global_buffer
      - .address_space:  global
        .offset:         8
        .size:           8
        .value_kind:     global_buffer
      - .offset:         16
        .size:           4
        .value_kind:     by_value
      - .offset:         20
        .size:           4
        .value_kind:     by_value
      - .offset:         24
        .size:           4
        .value_kind:     by_value
      - .offset:         32
        .size:           4
        .value_kind:     hidden_block_count_x
      - .offset:         36
        .size:           4
        .value_kind:     hidden_block_count_y
      - .offset:         40
        .size:           4
        .value_kind:     hidden_block_count_z
      - .offset:         44
        .size:           2
        .value_kind:     hidden_group_size_x
      - .offset:         46
        .size:           2
        .value_kind:     hidden_group_size_y
      - .offset:         48
        .size:           2
        .value_kind:     hidden_group_size_z
      - .offset:         50
        .size:           2
        .value_kind:     hidden_remainder_x
      - .offset:         52
        .size:           2
        .value_kind:     hidden_remainder_y
      - .offset:         54
        .size:           2
        .value_kind:     hidden_remainder_z
      - .offset:         72
        .size:           8
        .value_kind:     hidden_global_offset_x
      - .offset:         80
        .size:           8
        .value_kind:     hidden_global_offset_y
      - .offset:         88
        .size:           8
        .value_kind:     hidden_global_offset_z
      - .offset:         96
        .size:           2
        .value_kind:     hidden_grid_dims
    .group_segment_fixed_size: 0
    .kernarg_segment_align: 8
    .kernarg_segment_size: 288
    .language:       OpenCL C
    .language_version:
      - 2
      - 0
    .max_flat_workgroup_size: 1024
    .name:           _Z15cuInsertionSortPfPiiii
    .private_segment_fixed_size: 0
    .sgpr_count:     28
    .sgpr_spill_count: 0
    .symbol:         _Z15cuInsertionSortPfPiiii.kd
    .uniform_work_group_size: 1
    .uses_dynamic_stack: false
    .vgpr_count:     14
    .vgpr_spill_count: 0
    .wavefront_size: 64
  - .args:
      - .address_space:  global
        .offset:         0
        .size:           8
        .value_kind:     global_buffer
      - .offset:         8
        .size:           4
        .value_kind:     by_value
      - .offset:         12
        .size:           4
        .value_kind:     by_value
      - .offset:         16
        .size:           4
        .value_kind:     hidden_block_count_x
      - .offset:         20
        .size:           4
        .value_kind:     hidden_block_count_y
      - .offset:         24
        .size:           4
        .value_kind:     hidden_block_count_z
      - .offset:         28
        .size:           2
        .value_kind:     hidden_group_size_x
      - .offset:         30
        .size:           2
        .value_kind:     hidden_group_size_y
      - .offset:         32
        .size:           2
        .value_kind:     hidden_group_size_z
      - .offset:         34
        .size:           2
        .value_kind:     hidden_remainder_x
      - .offset:         36
        .size:           2
        .value_kind:     hidden_remainder_y
      - .offset:         38
        .size:           2
        .value_kind:     hidden_remainder_z
      - .offset:         56
        .size:           8
        .value_kind:     hidden_global_offset_x
      - .offset:         64
        .size:           8
        .value_kind:     hidden_global_offset_y
      - .offset:         72
        .size:           8
        .value_kind:     hidden_global_offset_z
      - .offset:         80
        .size:           2
        .value_kind:     hidden_grid_dims
    .group_segment_fixed_size: 0
    .kernarg_segment_align: 8
    .kernarg_segment_size: 272
    .language:       OpenCL C
    .language_version:
      - 2
      - 0
    .max_flat_workgroup_size: 1024
    .name:           _Z14cuParallelSqrtPfii
    .private_segment_fixed_size: 0
    .sgpr_count:     12
    .sgpr_spill_count: 0
    .symbol:         _Z14cuParallelSqrtPfii.kd
    .uniform_work_group_size: 1
    .uses_dynamic_stack: false
    .vgpr_count:     9
    .vgpr_spill_count: 0
    .wavefront_size: 64
amdhsa.target:   amdgcn-amd-amdhsa--gfx906
amdhsa.version:
  - 1
  - 2
...

	.end_amdgpu_metadata
